;; amdgpu-corpus repo=ROCm/rocFFT kind=compiled arch=gfx906 opt=O3
	.text
	.amdgcn_target "amdgcn-amd-amdhsa--gfx906"
	.amdhsa_code_object_version 6
	.protected	fft_rtc_fwd_len1540_factors_11_2_7_5_2_wgs_154_tpt_154_halfLds_half_op_CI_CI_sbrr_dirReg ; -- Begin function fft_rtc_fwd_len1540_factors_11_2_7_5_2_wgs_154_tpt_154_halfLds_half_op_CI_CI_sbrr_dirReg
	.globl	fft_rtc_fwd_len1540_factors_11_2_7_5_2_wgs_154_tpt_154_halfLds_half_op_CI_CI_sbrr_dirReg
	.p2align	8
	.type	fft_rtc_fwd_len1540_factors_11_2_7_5_2_wgs_154_tpt_154_halfLds_half_op_CI_CI_sbrr_dirReg,@function
fft_rtc_fwd_len1540_factors_11_2_7_5_2_wgs_154_tpt_154_halfLds_half_op_CI_CI_sbrr_dirReg: ; @fft_rtc_fwd_len1540_factors_11_2_7_5_2_wgs_154_tpt_154_halfLds_half_op_CI_CI_sbrr_dirReg
; %bb.0:
	s_load_dwordx4 s[16:19], s[4:5], 0x18
	s_load_dwordx4 s[12:15], s[4:5], 0x0
	;; [unrolled: 1-line block ×3, first 2 shown]
	v_mul_u32_u24_e32 v1, 0x1aa, v0
	v_mov_b32_e32 v3, 0
	s_waitcnt lgkmcnt(0)
	s_load_dwordx2 s[22:23], s[16:17], 0x0
	s_load_dwordx2 s[20:21], s[18:19], 0x0
	v_cmp_lt_u64_e64 s[0:1], s[14:15], 2
	v_mov_b32_e32 v7, 0
	v_add_u32_sdwa v9, s6, v1 dst_sel:DWORD dst_unused:UNUSED_PAD src0_sel:DWORD src1_sel:WORD_1
	v_mov_b32_e32 v10, v3
	s_and_b64 vcc, exec, s[0:1]
	v_mov_b32_e32 v8, 0
	s_cbranch_vccnz .LBB0_8
; %bb.1:
	s_load_dwordx2 s[0:1], s[4:5], 0x10
	s_add_u32 s2, s18, 8
	s_addc_u32 s3, s19, 0
	s_add_u32 s6, s16, 8
	s_addc_u32 s7, s17, 0
	v_mov_b32_e32 v7, 0
	s_waitcnt lgkmcnt(0)
	s_add_u32 s24, s0, 8
	v_mov_b32_e32 v8, 0
	v_mov_b32_e32 v1, v7
	s_addc_u32 s25, s1, 0
	s_mov_b64 s[26:27], 1
	v_mov_b32_e32 v2, v8
.LBB0_2:                                ; =>This Inner Loop Header: Depth=1
	s_load_dwordx2 s[28:29], s[24:25], 0x0
                                        ; implicit-def: $vgpr5_vgpr6
	s_waitcnt lgkmcnt(0)
	v_or_b32_e32 v4, s29, v10
	v_cmp_ne_u64_e32 vcc, 0, v[3:4]
	s_and_saveexec_b64 s[0:1], vcc
	s_xor_b64 s[30:31], exec, s[0:1]
	s_cbranch_execz .LBB0_4
; %bb.3:                                ;   in Loop: Header=BB0_2 Depth=1
	v_cvt_f32_u32_e32 v4, s28
	v_cvt_f32_u32_e32 v5, s29
	s_sub_u32 s0, 0, s28
	s_subb_u32 s1, 0, s29
	v_mac_f32_e32 v4, 0x4f800000, v5
	v_rcp_f32_e32 v4, v4
	v_mul_f32_e32 v4, 0x5f7ffffc, v4
	v_mul_f32_e32 v5, 0x2f800000, v4
	v_trunc_f32_e32 v5, v5
	v_mac_f32_e32 v4, 0xcf800000, v5
	v_cvt_u32_f32_e32 v5, v5
	v_cvt_u32_f32_e32 v4, v4
	v_mul_lo_u32 v6, s0, v5
	v_mul_hi_u32 v11, s0, v4
	v_mul_lo_u32 v13, s1, v4
	v_mul_lo_u32 v12, s0, v4
	v_add_u32_e32 v6, v11, v6
	v_add_u32_e32 v6, v6, v13
	v_mul_hi_u32 v11, v4, v12
	v_mul_lo_u32 v13, v4, v6
	v_mul_hi_u32 v15, v4, v6
	v_mul_hi_u32 v14, v5, v12
	v_mul_lo_u32 v12, v5, v12
	v_mul_hi_u32 v16, v5, v6
	v_add_co_u32_e32 v11, vcc, v11, v13
	v_addc_co_u32_e32 v13, vcc, 0, v15, vcc
	v_mul_lo_u32 v6, v5, v6
	v_add_co_u32_e32 v11, vcc, v11, v12
	v_addc_co_u32_e32 v11, vcc, v13, v14, vcc
	v_addc_co_u32_e32 v12, vcc, 0, v16, vcc
	v_add_co_u32_e32 v6, vcc, v11, v6
	v_addc_co_u32_e32 v11, vcc, 0, v12, vcc
	v_add_co_u32_e32 v4, vcc, v4, v6
	v_addc_co_u32_e32 v5, vcc, v5, v11, vcc
	v_mul_lo_u32 v6, s0, v5
	v_mul_hi_u32 v11, s0, v4
	v_mul_lo_u32 v12, s1, v4
	v_mul_lo_u32 v13, s0, v4
	v_add_u32_e32 v6, v11, v6
	v_add_u32_e32 v6, v6, v12
	v_mul_lo_u32 v14, v4, v6
	v_mul_hi_u32 v15, v4, v13
	v_mul_hi_u32 v16, v4, v6
	;; [unrolled: 1-line block ×3, first 2 shown]
	v_mul_lo_u32 v13, v5, v13
	v_mul_hi_u32 v11, v5, v6
	v_add_co_u32_e32 v14, vcc, v15, v14
	v_addc_co_u32_e32 v15, vcc, 0, v16, vcc
	v_mul_lo_u32 v6, v5, v6
	v_add_co_u32_e32 v13, vcc, v14, v13
	v_addc_co_u32_e32 v12, vcc, v15, v12, vcc
	v_addc_co_u32_e32 v11, vcc, 0, v11, vcc
	v_add_co_u32_e32 v6, vcc, v12, v6
	v_addc_co_u32_e32 v11, vcc, 0, v11, vcc
	v_add_co_u32_e32 v6, vcc, v4, v6
	v_addc_co_u32_e32 v11, vcc, v5, v11, vcc
	v_mad_u64_u32 v[4:5], s[0:1], v9, v11, 0
	v_mul_hi_u32 v12, v9, v6
	v_add_co_u32_e32 v13, vcc, v12, v4
	v_addc_co_u32_e32 v14, vcc, 0, v5, vcc
	v_mad_u64_u32 v[4:5], s[0:1], v10, v6, 0
	v_mad_u64_u32 v[11:12], s[0:1], v10, v11, 0
	v_add_co_u32_e32 v4, vcc, v13, v4
	v_addc_co_u32_e32 v4, vcc, v14, v5, vcc
	v_addc_co_u32_e32 v5, vcc, 0, v12, vcc
	v_add_co_u32_e32 v11, vcc, v4, v11
	v_addc_co_u32_e32 v6, vcc, 0, v5, vcc
	v_mul_lo_u32 v12, s29, v11
	v_mul_lo_u32 v13, s28, v6
	v_mad_u64_u32 v[4:5], s[0:1], s28, v11, 0
	v_add3_u32 v5, v5, v13, v12
	v_sub_u32_e32 v12, v10, v5
	v_mov_b32_e32 v13, s29
	v_sub_co_u32_e32 v4, vcc, v9, v4
	v_subb_co_u32_e64 v12, s[0:1], v12, v13, vcc
	v_subrev_co_u32_e64 v13, s[0:1], s28, v4
	v_subbrev_co_u32_e64 v12, s[0:1], 0, v12, s[0:1]
	v_cmp_le_u32_e64 s[0:1], s29, v12
	v_cndmask_b32_e64 v14, 0, -1, s[0:1]
	v_cmp_le_u32_e64 s[0:1], s28, v13
	v_cndmask_b32_e64 v13, 0, -1, s[0:1]
	v_cmp_eq_u32_e64 s[0:1], s29, v12
	v_cndmask_b32_e64 v12, v14, v13, s[0:1]
	v_add_co_u32_e64 v13, s[0:1], 2, v11
	v_addc_co_u32_e64 v14, s[0:1], 0, v6, s[0:1]
	v_add_co_u32_e64 v15, s[0:1], 1, v11
	v_addc_co_u32_e64 v16, s[0:1], 0, v6, s[0:1]
	v_subb_co_u32_e32 v5, vcc, v10, v5, vcc
	v_cmp_ne_u32_e64 s[0:1], 0, v12
	v_cmp_le_u32_e32 vcc, s29, v5
	v_cndmask_b32_e64 v12, v16, v14, s[0:1]
	v_cndmask_b32_e64 v14, 0, -1, vcc
	v_cmp_le_u32_e32 vcc, s28, v4
	v_cndmask_b32_e64 v4, 0, -1, vcc
	v_cmp_eq_u32_e32 vcc, s29, v5
	v_cndmask_b32_e32 v4, v14, v4, vcc
	v_cmp_ne_u32_e32 vcc, 0, v4
	v_cndmask_b32_e64 v4, v15, v13, s[0:1]
	v_cndmask_b32_e32 v6, v6, v12, vcc
	v_cndmask_b32_e32 v5, v11, v4, vcc
.LBB0_4:                                ;   in Loop: Header=BB0_2 Depth=1
	s_andn2_saveexec_b64 s[0:1], s[30:31]
	s_cbranch_execz .LBB0_6
; %bb.5:                                ;   in Loop: Header=BB0_2 Depth=1
	v_cvt_f32_u32_e32 v4, s28
	s_sub_i32 s30, 0, s28
	v_rcp_iflag_f32_e32 v4, v4
	v_mul_f32_e32 v4, 0x4f7ffffe, v4
	v_cvt_u32_f32_e32 v4, v4
	v_mul_lo_u32 v5, s30, v4
	v_mul_hi_u32 v5, v4, v5
	v_add_u32_e32 v4, v4, v5
	v_mul_hi_u32 v4, v9, v4
	v_mul_lo_u32 v5, v4, s28
	v_add_u32_e32 v6, 1, v4
	v_sub_u32_e32 v5, v9, v5
	v_subrev_u32_e32 v11, s28, v5
	v_cmp_le_u32_e32 vcc, s28, v5
	v_cndmask_b32_e32 v5, v5, v11, vcc
	v_cndmask_b32_e32 v4, v4, v6, vcc
	v_add_u32_e32 v6, 1, v4
	v_cmp_le_u32_e32 vcc, s28, v5
	v_cndmask_b32_e32 v5, v4, v6, vcc
	v_mov_b32_e32 v6, v3
.LBB0_6:                                ;   in Loop: Header=BB0_2 Depth=1
	s_or_b64 exec, exec, s[0:1]
	v_mul_lo_u32 v4, v6, s28
	v_mul_lo_u32 v13, v5, s29
	v_mad_u64_u32 v[11:12], s[0:1], v5, s28, 0
	s_load_dwordx2 s[0:1], s[6:7], 0x0
	s_load_dwordx2 s[28:29], s[2:3], 0x0
	v_add3_u32 v4, v12, v13, v4
	v_sub_co_u32_e32 v9, vcc, v9, v11
	v_subb_co_u32_e32 v4, vcc, v10, v4, vcc
	s_waitcnt lgkmcnt(0)
	v_mul_lo_u32 v10, s0, v4
	v_mul_lo_u32 v11, s1, v9
	v_mad_u64_u32 v[7:8], s[0:1], s0, v9, v[7:8]
	s_add_u32 s26, s26, 1
	s_addc_u32 s27, s27, 0
	s_add_u32 s2, s2, 8
	v_mul_lo_u32 v4, s28, v4
	v_mul_lo_u32 v12, s29, v9
	v_mad_u64_u32 v[1:2], s[0:1], s28, v9, v[1:2]
	v_add3_u32 v8, v11, v8, v10
	s_addc_u32 s3, s3, 0
	v_mov_b32_e32 v9, s14
	s_add_u32 s6, s6, 8
	v_mov_b32_e32 v10, s15
	s_addc_u32 s7, s7, 0
	v_cmp_ge_u64_e32 vcc, s[26:27], v[9:10]
	s_add_u32 s24, s24, 8
	v_add3_u32 v2, v12, v2, v4
	s_addc_u32 s25, s25, 0
	s_cbranch_vccnz .LBB0_9
; %bb.7:                                ;   in Loop: Header=BB0_2 Depth=1
	v_mov_b32_e32 v10, v6
	v_mov_b32_e32 v9, v5
	s_branch .LBB0_2
.LBB0_8:
	v_mov_b32_e32 v1, v7
	v_mov_b32_e32 v5, v9
	;; [unrolled: 1-line block ×4, first 2 shown]
.LBB0_9:
	s_load_dwordx2 s[0:1], s[4:5], 0x28
	s_mov_b32 s4, 0x1a98ef7
	v_mul_hi_u32 v3, v0, s4
	s_lshl_b64 s[2:3], s[14:15], 3
	s_add_u32 s4, s18, s2
	s_waitcnt lgkmcnt(0)
	v_cmp_gt_u64_e32 vcc, s[0:1], v[5:6]
	v_mul_u32_u24_e32 v3, 0x9a, v3
	v_sub_u32_e32 v3, v0, v3
	s_movk_i32 s0, 0x8c
	v_cmp_gt_u32_e64 s[0:1], s0, v3
	s_addc_u32 s5, s19, s3
	s_and_b64 s[14:15], vcc, s[0:1]
	v_mov_b32_e32 v0, 0
	v_mov_b32_e32 v26, 0
                                        ; implicit-def: $vgpr10
                                        ; implicit-def: $vgpr9
                                        ; implicit-def: $vgpr11
                                        ; implicit-def: $vgpr13
                                        ; implicit-def: $vgpr12
                                        ; implicit-def: $vgpr14
                                        ; implicit-def: $vgpr18
                                        ; implicit-def: $vgpr15
                                        ; implicit-def: $vgpr19
                                        ; implicit-def: $vgpr16
                                        ; implicit-def: $vgpr20
                                        ; implicit-def: $vgpr17
                                        ; implicit-def: $vgpr21
                                        ; implicit-def: $vgpr25
                                        ; implicit-def: $vgpr22
                                        ; implicit-def: $vgpr27
                                        ; implicit-def: $vgpr23
                                        ; implicit-def: $vgpr28
                                        ; implicit-def: $vgpr24
                                        ; implicit-def: $vgpr29
	s_and_saveexec_b64 s[6:7], s[14:15]
	s_cbranch_execz .LBB0_11
; %bb.10:
	s_add_u32 s2, s16, s2
	s_addc_u32 s3, s17, s3
	s_load_dwordx2 s[2:3], s[2:3], 0x0
	v_mad_u64_u32 v[9:10], s[14:15], s22, v3, 0
	v_lshlrev_b64 v[7:8], 2, v[7:8]
	v_mov_b32_e32 v0, v10
	s_waitcnt lgkmcnt(0)
	v_mul_lo_u32 v4, s3, v5
	v_mul_lo_u32 v15, s2, v6
	v_mad_u64_u32 v[11:12], s[2:3], s2, v5, 0
	v_mad_u64_u32 v[13:14], s[2:3], s23, v3, v[0:1]
	v_add3_u32 v12, v12, v15, v4
	v_lshlrev_b64 v[11:12], 2, v[11:12]
	v_mov_b32_e32 v10, v13
	v_mov_b32_e32 v0, s9
	v_add_co_u32_e64 v4, s[2:3], s8, v11
	v_add_u32_e32 v13, 0x8c, v3
	v_addc_co_u32_e64 v0, s[2:3], v0, v12, s[2:3]
	v_mad_u64_u32 v[11:12], s[2:3], s22, v13, 0
	v_add_co_u32_e64 v4, s[2:3], v4, v7
	v_addc_co_u32_e64 v24, s[2:3], v0, v8, s[2:3]
	v_mov_b32_e32 v0, v12
	v_add_u32_e32 v15, 0x118, v3
	v_lshlrev_b64 v[7:8], 2, v[9:10]
	v_mad_u64_u32 v[9:10], s[2:3], s23, v13, v[0:1]
	v_mad_u64_u32 v[13:14], s[2:3], s22, v15, 0
	v_add_co_u32_e64 v7, s[2:3], v4, v7
	v_mov_b32_e32 v12, v9
	v_mov_b32_e32 v0, v14
	v_addc_co_u32_e64 v8, s[2:3], v24, v8, s[2:3]
	v_lshlrev_b64 v[9:10], 2, v[11:12]
	v_mad_u64_u32 v[11:12], s[2:3], s23, v15, v[0:1]
	v_add_u32_e32 v12, 0x1a4, v3
	v_mad_u64_u32 v[15:16], s[2:3], s22, v12, 0
	v_add_co_u32_e64 v18, s[2:3], v4, v9
	v_mov_b32_e32 v14, v11
	v_mov_b32_e32 v0, v16
	v_addc_co_u32_e64 v19, s[2:3], v24, v10, s[2:3]
	v_lshlrev_b64 v[9:10], 2, v[13:14]
	v_mad_u64_u32 v[11:12], s[2:3], s23, v12, v[0:1]
	v_add_u32_e32 v14, 0x230, v3
	v_mad_u64_u32 v[12:13], s[2:3], s22, v14, 0
	v_add_co_u32_e64 v20, s[2:3], v4, v9
	v_mov_b32_e32 v0, v13
	v_addc_co_u32_e64 v21, s[2:3], v24, v10, s[2:3]
	v_mov_b32_e32 v16, v11
	v_mad_u64_u32 v[13:14], s[2:3], s23, v14, v[0:1]
	v_add_u32_e32 v11, 0x2bc, v3
	v_lshlrev_b64 v[9:10], 2, v[15:16]
	v_mad_u64_u32 v[14:15], s[2:3], s22, v11, 0
	v_add_co_u32_e64 v22, s[2:3], v4, v9
	v_mov_b32_e32 v0, v15
	v_addc_co_u32_e64 v23, s[2:3], v24, v10, s[2:3]
	v_lshlrev_b64 v[9:10], 2, v[12:13]
	v_mad_u64_u32 v[11:12], s[2:3], s23, v11, v[0:1]
	v_add_u32_e32 v16, 0x348, v3
	v_mad_u64_u32 v[12:13], s[2:3], s22, v16, 0
	v_add_co_u32_e64 v27, s[2:3], v4, v9
	v_mov_b32_e32 v15, v11
	v_mov_b32_e32 v0, v13
	v_addc_co_u32_e64 v28, s[2:3], v24, v10, s[2:3]
	v_lshlrev_b64 v[9:10], 2, v[14:15]
	v_mad_u64_u32 v[13:14], s[2:3], s23, v16, v[0:1]
	v_add_u32_e32 v11, 0x3d4, v3
	v_mad_u64_u32 v[14:15], s[2:3], s22, v11, 0
	v_add_co_u32_e64 v29, s[2:3], v4, v9
	v_mov_b32_e32 v0, v15
	v_addc_co_u32_e64 v30, s[2:3], v24, v10, s[2:3]
	v_lshlrev_b64 v[9:10], 2, v[12:13]
	v_mad_u64_u32 v[11:12], s[2:3], s23, v11, v[0:1]
	v_add_co_u32_e64 v31, s[2:3], v4, v9
	v_mov_b32_e32 v15, v11
	v_add_u32_e32 v13, 0x460, v3
	v_addc_co_u32_e64 v32, s[2:3], v24, v10, s[2:3]
	v_lshlrev_b64 v[9:10], 2, v[14:15]
	v_mad_u64_u32 v[11:12], s[2:3], s22, v13, 0
	v_add_co_u32_e64 v33, s[2:3], v4, v9
	v_addc_co_u32_e64 v34, s[2:3], v24, v10, s[2:3]
	v_add_u32_e32 v10, 0x4ec, v3
	v_mov_b32_e32 v0, v12
	v_mad_u64_u32 v[35:36], s[2:3], s22, v10, 0
	v_mad_u64_u32 v[12:13], s[2:3], s23, v13, v[0:1]
	v_mov_b32_e32 v0, v36
	global_load_dword v26, v[7:8], off
	global_load_dword v9, v[18:19], off
	global_load_dword v13, v[20:21], off
	global_load_dword v14, v[22:23], off
	global_load_dword v15, v[27:28], off
	global_load_dword v16, v[29:30], off
	global_load_dword v17, v[31:32], off
	global_load_dword v25, v[33:34], off
	v_lshlrev_b64 v[7:8], 2, v[11:12]
	v_mad_u64_u32 v[10:11], s[2:3], s23, v10, v[0:1]
	v_add_u32_e32 v20, 0x578, v3
	v_mad_u64_u32 v[11:12], s[2:3], s22, v20, 0
	v_add_co_u32_e64 v7, s[2:3], v4, v7
	v_mov_b32_e32 v0, v12
	v_addc_co_u32_e64 v8, s[2:3], v24, v8, s[2:3]
	v_mad_u64_u32 v[20:21], s[2:3], s23, v20, v[0:1]
	v_mov_b32_e32 v36, v10
	v_lshlrev_b64 v[18:19], 2, v[35:36]
	v_mov_b32_e32 v12, v20
	v_add_co_u32_e64 v18, s[2:3], v4, v18
	v_lshlrev_b64 v[10:11], 2, v[11:12]
	v_addc_co_u32_e64 v19, s[2:3], v24, v19, s[2:3]
	v_add_co_u32_e64 v10, s[2:3], v4, v10
	v_addc_co_u32_e64 v11, s[2:3], v24, v11, s[2:3]
	global_load_dword v27, v[7:8], off
	global_load_dword v28, v[18:19], off
	;; [unrolled: 1-line block ×3, first 2 shown]
	s_waitcnt vmcnt(10)
	v_lshrrev_b32_e32 v0, 16, v26
	s_waitcnt vmcnt(9)
	v_lshrrev_b32_e32 v10, 16, v9
	;; [unrolled: 2-line block ×11, first 2 shown]
.LBB0_11:
	s_or_b64 exec, exec, s[6:7]
	v_add_f16_e32 v33, v9, v29
	v_sub_f16_e32 v7, v10, v24
	v_mul_f16_e32 v36, 0x3abb, v33
	s_mov_b32 s2, 0xb853
	v_add_f16_e32 v34, v13, v28
	v_fma_f16 v4, v7, s2, v36
	v_sub_f16_e32 v8, v11, v23
	v_mul_f16_e32 v37, 0x36a6, v34
	s_mov_b32 s2, 0xbb47
	v_add_f16_e32 v4, v26, v4
	v_fma_f16 v30, v8, s2, v37
	v_add_f16_e32 v38, v14, v27
	v_add_f16_e32 v4, v30, v4
	s_mov_b32 s2, 0xbbeb
	v_sub_f16_e32 v30, v12, v22
	v_mul_f16_e32 v35, 0xb08e, v38
	v_fma_f16 v31, v30, s2, v35
	v_add_f16_e32 v40, v15, v25
	v_add_f16_e32 v4, v31, v4
	s_mov_b32 s2, 0xba0c
	v_sub_f16_e32 v31, v18, v21
	v_mul_f16_e32 v39, 0xb93d, v40
	;; [unrolled: 6-line block ×3, first 2 shown]
	v_fma_f16 v43, v32, s2, v41
	v_add_f16_e32 v4, v43, v4
	s_and_saveexec_b64 s[2:3], s[0:1]
	s_cbranch_execz .LBB0_13
; %bb.12:
	v_mul_f16_e32 v43, 0xb853, v7
	v_mul_f16_e32 v44, 0xbb47, v8
	s_mov_b32 s6, 0xbbadb93d
	v_sub_f16_e32 v36, v36, v43
	s_mov_b32 s18, 0xb08e36a6
	v_mul_f16_e32 v45, 0xbbeb, v30
	v_pk_mul_f16 v48, v33, s6 op_sel_hi:[0,1]
	s_mov_b32 s8, 0x3abbb08e
	v_sub_f16_e32 v37, v37, v44
	v_pk_mul_f16 v51, v33, s18 op_sel_hi:[0,1]
	v_add_f16_e32 v33, v26, v36
	v_mul_f16_e32 v46, 0xba0c, v31
	v_pk_mul_f16 v49, v34, s8 op_sel_hi:[0,1]
	v_pk_mul_f16 v52, v34, s6 op_sel_hi:[0,1]
	v_add_f16_e32 v33, v37, v33
	v_sub_f16_e32 v34, v35, v45
	v_mul_f16_e32 v47, 0xb482, v32
	v_add_f16_e32 v33, v34, v33
	v_sub_f16_e32 v34, v39, v46
	v_add_f16_e32 v33, v34, v33
	v_sub_f16_e32 v34, v41, v47
	v_add_f16_e32 v33, v34, v33
	v_add_f16_e32 v34, v26, v9
	;; [unrolled: 1-line block ×9, first 2 shown]
	v_pk_mul_f16 v44, v42, s18 op_sel_hi:[0,1]
	s_mov_b32 s18, 0xbbebbb47
	v_add_f16_e32 v34, v34, v28
	s_mov_b32 s14, 0xb93d3abb
	s_mov_b32 s16, 0x36a6bbad
	;; [unrolled: 1-line block ×3, first 2 shown]
	v_add_f16_e32 v37, v34, v29
	v_pk_fma_f16 v34, v7, s18, v51 op_sel_hi:[0,1,1] neg_lo:[1,0,0] neg_hi:[1,0,0]
	v_pk_mul_f16 v50, v38, s14 op_sel_hi:[0,1]
	v_pk_mul_f16 v43, v40, s16 op_sel_hi:[0,1]
	;; [unrolled: 1-line block ×3, first 2 shown]
	s_mov_b32 s16, 0x3b473482
	v_pk_add_f16 v34, v26, v34 op_sel_hi:[0,1]
	v_pk_fma_f16 v35, v8, s6, v52 op_sel_hi:[0,1,1] neg_lo:[1,0,0] neg_hi:[1,0,0]
	v_pk_mul_f16 v40, v40, s8 op_sel_hi:[0,1]
	s_mov_b32 s8, 0xb8533beb
	v_pk_add_f16 v34, v35, v34
	v_pk_fma_f16 v35, v30, s16, v38 op_sel_hi:[0,1,1] neg_lo:[1,0,0] neg_hi:[1,0,0]
	v_pk_mul_f16 v42, v42, s14 op_sel_hi:[0,1]
	s_mov_b32 s14, 0xba0c3853
	v_pk_add_f16 v34, v35, v34
	v_pk_fma_f16 v35, v31, s8, v40 op_sel_hi:[0,1,1] neg_lo:[1,0,0] neg_hi:[1,0,0]
	s_mov_b32 s7, 0xb482ba0c
	v_pk_add_f16 v34, v35, v34
	v_pk_fma_f16 v35, v32, s14, v42 op_sel_hi:[0,1,1] neg_lo:[1,0,0] neg_hi:[1,0,0]
	;; [unrolled: 3-line block ×3, first 2 shown]
	s_mov_b32 s15, 0xba0cb853
	v_pk_add_f16 v35, v26, v35 op_sel_hi:[0,1]
	v_pk_fma_f16 v36, v8, s9, v49 op_sel_hi:[0,1,1] neg_lo:[1,0,0] neg_hi:[1,0,0]
	s_mov_b32 s17, 0x3b47b482
	v_pk_add_f16 v35, v36, v35
	v_pk_fma_f16 v36, v30, s15, v50 op_sel_hi:[0,1,1] neg_lo:[1,0,0] neg_hi:[1,0,0]
	s_mov_b32 s19, 0xbbeb3b47
	v_pk_add_f16 v35, v36, v35
	v_pk_fma_f16 v36, v31, s17, v43 op_sel_hi:[0,1,1] neg_lo:[1,0,0] neg_hi:[1,0,0]
	v_pk_add_f16 v35, v36, v35
	v_pk_fma_f16 v36, v32, s19, v44 op_sel_hi:[0,1,1] neg_lo:[1,0,0] neg_hi:[1,0,0]
	v_pk_add_f16 v35, v36, v35
	v_pk_fma_f16 v36, v7, s7, v48 op_sel_hi:[0,1,1]
	v_pk_fma_f16 v7, v7, s18, v51 op_sel_hi:[0,1,1]
	v_pk_add_f16 v36, v26, v36 op_sel_hi:[0,1]
	v_pk_fma_f16 v41, v8, s9, v49 op_sel_hi:[0,1,1]
	v_pk_add_f16 v7, v26, v7 op_sel_hi:[0,1]
	v_pk_fma_f16 v8, v8, s6, v52 op_sel_hi:[0,1,1]
	v_pk_add_f16 v36, v41, v36
	v_pk_fma_f16 v41, v30, s15, v50 op_sel_hi:[0,1,1]
	v_pk_add_f16 v7, v8, v7
	;; [unrolled: 2-line block ×7, first 2 shown]
	v_pk_add_f16 v7, v8, v7
	v_mad_u32_u24 v39, v3, 22, 0
	v_alignbit_b32 v36, v36, v36, 16
	v_pack_b32_f16 v33, v37, v33
	v_alignbit_b32 v7, v7, v7, 16
	ds_write_b128 v39, v[33:36]
	ds_write_b32 v39, v7 offset:16
	ds_write_b16 v39, v4 offset:20
.LBB0_13:
	s_or_b64 exec, exec, s[2:3]
	v_add_f16_e32 v40, v10, v24
	s_mov_b32 s2, 0x36a63abb
	v_sub_f16_e32 v42, v9, v29
	v_pk_mul_f16 v34, v40, s2 op_sel_hi:[0,1]
	s_mov_b32 s2, 0xbb47b853
	v_add_f16_e32 v37, v11, v23
	v_pk_mul_f16 v36, v42, s2 op_sel_hi:[0,1]
	s_mov_b32 s2, 0xb93d36a6
	v_sub_f16_e32 v39, v13, v28
	v_pk_mul_f16 v38, v37, s2 op_sel_hi:[0,1]
	s_mov_b32 s2, 0xba0cbb47
	v_add_f16_e32 v33, v12, v22
	v_pk_mul_f16 v41, v39, s2 op_sel_hi:[0,1]
	s_mov_b32 s2, 0xbbadb08e
	v_sub_f16_e32 v35, v14, v27
	v_pk_mul_f16 v43, v33, s2 op_sel_hi:[0,1]
	s_mov_b32 s2, 0x3482bbeb
	v_add_f16_e32 v31, v18, v21
	v_sub_f16_e32 v7, v34, v36
	v_pk_mul_f16 v44, v35, s2 op_sel_hi:[0,1]
	s_mov_b32 s2, 0xb08eb93d
	v_sub_f16_e32 v32, v15, v25
	v_add_f16_e32 v7, v0, v7
	v_sub_f16_e32 v9, v38, v41
	v_pk_mul_f16 v45, v31, s2 op_sel_hi:[0,1]
	s_mov_b32 s2, 0x3bebba0c
	v_add_f16_e32 v7, v9, v7
	v_sub_f16_e32 v9, v43, v44
	v_pk_mul_f16 v46, v32, s2 op_sel_hi:[0,1]
	v_add_f16_e32 v7, v9, v7
	v_sub_f16_e32 v9, v45, v46
	v_add_f16_e32 v14, v9, v7
	v_lshl_add_u32 v9, v3, 1, 0
	v_sub_f16_e32 v30, v16, v17
	s_waitcnt lgkmcnt(0)
	s_barrier
	ds_read_u16 v7, v9 offset:1848
	ds_read_u16 v13, v9 offset:2156
	ds_read_u16 v25, v9
	ds_read_u16 v26, v9 offset:308
	ds_read_u16 v27, v9 offset:616
	;; [unrolled: 1-line block ×7, first 2 shown]
	v_add_f16_e32 v8, v19, v20
	s_mov_b32 s2, 0x3abbbbad
	v_pk_mul_f16 v47, v8, s2 op_sel_hi:[0,1]
	s_mov_b32 s2, 0x3853b482
	v_pk_mul_f16 v48, v30, s2 op_sel_hi:[0,1]
	v_sub_f16_e32 v49, v47, v48
	v_add_f16_e32 v14, v49, v14
	s_waitcnt lgkmcnt(0)
	s_barrier
	s_and_saveexec_b64 s[2:3], s[0:1]
	s_cbranch_execz .LBB0_15
; %bb.14:
	v_add_f16_e32 v10, v0, v10
	v_add_f16_e32 v10, v10, v11
	;; [unrolled: 1-line block ×7, first 2 shown]
	s_mov_b32 s0, 0xbbad
	v_mul_f16_e32 v12, 0xb482, v42
	v_add_f16_e32 v10, v10, v22
	v_fma_f16 v18, v40, s0, v12
	s_movk_i32 s0, 0x3abb
	v_mul_f16_e32 v20, 0x3853, v39
	v_add_f16_e32 v10, v10, v23
	v_add_f16_e32 v18, v0, v18
	v_fma_f16 v21, v37, s0, v20
	s_mov_b32 s0, 0xb93d
	v_mul_f16_e32 v22, 0xba0c, v35
	v_add_f16_e32 v10, v10, v24
	v_add_f16_e32 v18, v21, v18
	v_fma_f16 v23, v33, s0, v22
	s_movk_i32 s0, 0x36a6
	v_mul_f16_e32 v24, 0x3b47, v32
	v_pack_b32_f16 v55, v31, v31
	v_add_f16_e32 v18, v23, v18
	v_mul_f16_e32 v23, 0x36a6, v31
	v_fma_f16 v31, v31, s0, v24
	v_add_f16_e32 v18, v31, v18
	v_pk_add_f16 v31, v34, v36
	v_pack_b32_f16 v56, v32, v32
	v_pk_add_f16 v31, v0, v31 op_sel_hi:[0,1]
	v_pk_add_f16 v32, v38, v41
	v_pk_add_f16 v31, v32, v31
	;; [unrolled: 1-line block ×3, first 2 shown]
	v_pack_b32_f16 v50, v42, v42
	v_pk_add_f16 v31, v32, v31
	v_pk_add_f16 v32, v45, v46
	s_mov_b32 s1, 0xba0cbbeb
	v_pack_b32_f16 v49, v40, v40
	v_pack_b32_f16 v52, v39, v39
	;; [unrolled: 1-line block ×3, first 2 shown]
	v_mul_f16_e32 v21, 0xb93d, v33
	v_pk_add_f16 v31, v32, v31
	v_pk_add_f16 v32, v47, v48
	s_mov_b32 s0, 0xb93db08e
	v_pk_mul_f16 v33, v50, s1
	s_mov_b32 s1, 0x3beb3482
	v_pack_b32_f16 v51, v37, v37
	v_pack_b32_f16 v54, v35, v35
	v_pk_add_f16 v31, v32, v31
	v_pk_mul_f16 v32, v49, s0
	v_pk_fma_f16 v34, v49, s0, v33
	s_mov_b32 s0, 0xb08ebbad
	v_pk_mul_f16 v36, v52, s1
	s_mov_b32 s1, 0xb8533b47
	v_mul_f16_e32 v19, 0x3abb, v37
	v_pk_add_f16 v34, v0, v34 op_sel_hi:[0,1]
	v_pk_mul_f16 v35, v51, s0
	v_pk_fma_f16 v37, v51, s0, v36
	s_mov_b32 s0, 0x3abb36a6
	v_pk_mul_f16 v38, v54, s1
	s_mov_b32 s1, 0xb482b853
	v_pack_b32_f16 v58, v30, v30
	v_mul_f16_e32 v11, 0xbbad, v40
	v_pk_add_f16 v34, v37, v34
	v_pk_mul_f16 v37, v53, s0
	v_pk_fma_f16 v39, v53, s0, v38
	s_mov_b32 s0, 0xbbad3abb
	v_pk_mul_f16 v40, v56, s1
	s_mov_b32 s1, 0x3b47ba0c
	v_pack_b32_f16 v57, v8, v8
	v_pk_add_f16 v34, v39, v34
	v_pk_mul_f16 v39, v55, s0
	v_pk_fma_f16 v41, v55, s0, v40
	s_mov_b32 s0, 0x36a6b93d
	v_pk_mul_f16 v42, v58, s1
	s_mov_b32 s1, 0x3b473beb
	v_pk_add_f16 v34, v41, v34
	v_pk_mul_f16 v41, v57, s0
	v_pk_fma_f16 v43, v57, s0, v42
	s_mov_b32 s0, 0x36a6b08e
	v_pk_mul_f16 v44, v50, s1
	s_mov_b32 s1, 0x3a0cb482
	v_pk_fma_f16 v44, v49, s0, v44
	s_mov_b32 s0, 0xb93dbbad
	v_pk_mul_f16 v45, v52, s1
	v_pk_add_f16 v44, v0, v44 op_sel_hi:[0,1]
	v_pk_fma_f16 v45, v51, s0, v45
	s_mov_b32 s1, 0xb482bb47
	v_pk_add_f16 v44, v45, v44
	s_mov_b32 s0, 0xbbad36a6
	v_pk_mul_f16 v45, v54, s1
	v_pk_fma_f16 v45, v53, s0, v45
	s_mov_b32 s1, 0xbbeb3853
	v_pk_add_f16 v44, v45, v44
	s_mov_b32 s0, 0xb08e3abb
	v_pk_mul_f16 v45, v56, s1
	;; [unrolled: 5-line block ×3, first 2 shown]
	v_pk_fma_f16 v45, v57, s0, v45
	s_mov_b32 s0, 0xb08e
	v_mul_f16_e32 v30, 0xbbeb, v30
	v_pk_add_f16 v34, v43, v34
	v_mul_f16_e32 v43, 0xb08e, v8
	v_fma_f16 v8, v8, s0, v30
	s_mov_b32 s0, 0xffff
	v_bfi_b32 v11, s0, v11, v32
	v_bfi_b32 v12, s0, v12, v33
	v_pk_add_f16 v11, v11, v12 neg_lo:[0,1] neg_hi:[0,1]
	v_pk_add_f16 v0, v0, v11 op_sel_hi:[0,1]
	v_bfi_b32 v11, s0, v19, v35
	v_bfi_b32 v12, s0, v20, v36
	v_pk_add_f16 v11, v11, v12 neg_lo:[0,1] neg_hi:[0,1]
	v_pk_add_f16 v0, v11, v0
	v_bfi_b32 v11, s0, v21, v37
	v_bfi_b32 v12, s0, v22, v38
	v_pk_add_f16 v11, v11, v12 neg_lo:[0,1] neg_hi:[0,1]
	v_pk_add_f16 v0, v11, v0
	;; [unrolled: 4-line block ×3, first 2 shown]
	v_bfi_b32 v11, s0, v43, v41
	v_bfi_b32 v12, s0, v30, v42
	v_add_f16_e32 v8, v8, v18
	v_pk_add_f16 v11, v11, v12 neg_lo:[0,1] neg_hi:[0,1]
	v_pk_add_f16 v21, v11, v0
	v_mad_u32_u24 v0, v3, 20, v9
	v_alignbit_b32 v20, v8, v34, 16
	v_alignbit_b32 v19, v34, v31, 16
	v_pack_b32_f16 v18, v10, v31
	v_pk_add_f16 v44, v45, v44
	ds_write_b128 v0, v[18:21]
	ds_write_b32 v0, v44 offset:16
	ds_write_b16 v0, v14 offset:20
.LBB0_15:
	s_or_b64 exec, exec, s[2:3]
	s_movk_i32 s0, 0x75
	v_mul_lo_u16_sdwa v8, v3, s0 dst_sel:DWORD dst_unused:UNUSED_PAD src0_sel:BYTE_0 src1_sel:DWORD
	v_sub_u16_sdwa v18, v3, v8 dst_sel:DWORD dst_unused:UNUSED_PAD src0_sel:DWORD src1_sel:BYTE_1
	v_lshrrev_b16_e32 v18, 1, v18
	v_and_b32_e32 v18, 0x7f, v18
	v_add_u16_sdwa v8, v18, v8 dst_sel:DWORD dst_unused:UNUSED_PAD src0_sel:DWORD src1_sel:BYTE_1
	v_lshrrev_b16_e32 v8, 3, v8
	v_mul_lo_u16_e32 v18, 11, v8
	v_add_u32_e32 v12, 0x9a, v3
	v_sub_u16_e32 v30, v3, v18
	v_mov_b32_e32 v18, 2
	s_mov_b32 s0, 0xba2f
	v_lshlrev_b32_sdwa v21, v18, v30 dst_sel:DWORD dst_unused:UNUSED_PAD src0_sel:DWORD src1_sel:BYTE_0
	v_mul_u32_u24_sdwa v18, v12, s0 dst_sel:DWORD dst_unused:UNUSED_PAD src0_sel:WORD_0 src1_sel:DWORD
	v_lshrrev_b32_e32 v32, 19, v18
	v_add_u32_e32 v11, 0x134, v3
	v_mul_lo_u16_e32 v18, 11, v32
	v_sub_u16_e32 v34, v12, v18
	v_mul_u32_u24_sdwa v18, v11, s0 dst_sel:DWORD dst_unused:UNUSED_PAD src0_sel:WORD_0 src1_sel:DWORD
	v_lshrrev_b32_e32 v36, 19, v18
	v_add_u32_e32 v10, 0x1ce, v3
	v_mul_lo_u16_e32 v18, 11, v36
	v_sub_u16_e32 v37, v11, v18
	;; [unrolled: 5-line block ×3, first 2 shown]
	v_mul_u32_u24_sdwa v18, v0, s0 dst_sel:DWORD dst_unused:UNUSED_PAD src0_sel:WORD_0 src1_sel:DWORD
	v_lshrrev_b32_e32 v45, 19, v18
	v_mul_lo_u16_e32 v18, 11, v45
	v_sub_u16_e32 v50, v0, v18
	s_load_dwordx2 s[2:3], s[4:5], 0x0
	s_waitcnt lgkmcnt(0)
	s_barrier
	v_lshlrev_b32_e32 v22, 2, v34
	v_lshlrev_b32_e32 v24, 2, v37
	;; [unrolled: 1-line block ×4, first 2 shown]
	global_load_dword v31, v21, s[12:13]
	global_load_dword v23, v22, s[12:13]
	;; [unrolled: 1-line block ×5, first 2 shown]
	ds_read_u16 v39, v9 offset:1848
	ds_read_u16 v38, v9 offset:2156
	ds_read_u16 v35, v9
	ds_read_u16 v33, v9 offset:308
	ds_read_u16 v24, v9 offset:616
	;; [unrolled: 1-line block ×7, first 2 shown]
	v_mov_b32_e32 v48, 1
	v_mul_u32_u24_e32 v8, 44, v8
	v_lshlrev_b32_sdwa v30, v48, v30 dst_sel:DWORD dst_unused:UNUSED_PAD src0_sel:DWORD src1_sel:BYTE_0
	v_mul_u32_u24_e32 v32, 44, v32
	v_lshlrev_b32_e32 v34, 1, v34
	v_add3_u32 v48, 0, v8, v30
	v_mul_u32_u24_e32 v36, 44, v36
	v_lshlrev_b32_e32 v37, 1, v37
	v_add3_u32 v47, 0, v32, v34
	v_add3_u32 v46, 0, v36, v37
	v_mul_u32_u24_e32 v42, 44, v42
	s_waitcnt vmcnt(0) lgkmcnt(0)
	s_barrier
	s_movk_i32 s0, 0x42
	v_cmp_gt_u32_e64 s[0:1], s0, v3
	v_mul_f16_sdwa v8, v44, v31 dst_sel:DWORD dst_unused:UNUSED_PAD src0_sel:DWORD src1_sel:WORD_1
	v_mul_f16_sdwa v30, v39, v23 dst_sel:DWORD dst_unused:UNUSED_PAD src0_sel:DWORD src1_sel:WORD_1
	;; [unrolled: 1-line block ×3, first 2 shown]
	v_fma_f16 v8, v17, v31, -v8
	v_fma_f16 v30, v7, v23, -v30
	;; [unrolled: 1-line block ×3, first 2 shown]
	v_sub_f16_e32 v37, v25, v8
	v_mul_f16_sdwa v34, v41, v19 dst_sel:DWORD dst_unused:UNUSED_PAD src0_sel:DWORD src1_sel:WORD_1
	v_mul_f16_sdwa v36, v40, v18 dst_sel:DWORD dst_unused:UNUSED_PAD src0_sel:DWORD src1_sel:WORD_1
	v_sub_f16_e32 v49, v26, v30
	v_sub_f16_e32 v32, v27, v32
	v_fma_f16 v25, v25, 2.0, -v37
	v_fma_f16 v34, v16, v19, -v34
	v_fma_f16 v36, v15, v18, -v36
	v_fma_f16 v26, v26, 2.0, -v49
	v_fma_f16 v27, v27, 2.0, -v32
	ds_write_b16 v48, v37 offset:22
	ds_write_b16 v48, v25
	ds_write_b16 v47, v26
	ds_write_b16 v47, v49 offset:22
	ds_write_b16 v46, v27
	ds_write_b16 v46, v32 offset:22
	v_lshlrev_b32_e32 v25, 1, v43
	v_sub_f16_e32 v8, v28, v34
	v_sub_f16_e32 v30, v29, v36
	v_add3_u32 v49, 0, v42, v25
	v_mul_u32_u24_e32 v25, 44, v45
	v_lshlrev_b32_e32 v26, 1, v50
	v_fma_f16 v34, v28, 2.0, -v8
	v_fma_f16 v28, v29, 2.0, -v30
	v_add3_u32 v50, 0, v25, v26
	ds_write_b16 v49, v34
	ds_write_b16 v49, v8 offset:22
	ds_write_b16 v50, v28
	ds_write_b16 v50, v30 offset:22
	s_waitcnt lgkmcnt(0)
	s_barrier
	ds_read_u16 v37, v9
	ds_read_u16 v45, v9 offset:440
	ds_read_u16 v43, v9 offset:880
	;; [unrolled: 1-line block ×6, first 2 shown]
                                        ; implicit-def: $vgpr32
                                        ; implicit-def: $vgpr36
                                        ; implicit-def: $vgpr34
	s_and_saveexec_b64 s[4:5], s[0:1]
	s_cbranch_execz .LBB0_17
; %bb.16:
	ds_read_u16 v8, v9 offset:308
	ds_read_u16 v28, v9 offset:748
	;; [unrolled: 1-line block ×7, first 2 shown]
.LBB0_17:
	s_or_b64 exec, exec, s[4:5]
	v_mul_f16_sdwa v17, v17, v31 dst_sel:DWORD dst_unused:UNUSED_PAD src0_sel:DWORD src1_sel:WORD_1
	v_mul_f16_sdwa v7, v7, v23 dst_sel:DWORD dst_unused:UNUSED_PAD src0_sel:DWORD src1_sel:WORD_1
	;; [unrolled: 1-line block ×3, first 2 shown]
	v_fma_f16 v17, v44, v31, v17
	v_fma_f16 v7, v39, v23, v7
	v_mul_f16_sdwa v13, v13, v20 dst_sel:DWORD dst_unused:UNUSED_PAD src0_sel:DWORD src1_sel:WORD_1
	v_fma_f16 v16, v41, v19, v16
	v_mul_f16_sdwa v15, v15, v18 dst_sel:DWORD dst_unused:UNUSED_PAD src0_sel:DWORD src1_sel:WORD_1
	v_fma_f16 v13, v38, v20, v13
	v_fma_f16 v15, v40, v18, v15
	v_sub_f16_e32 v17, v35, v17
	v_sub_f16_e32 v19, v33, v7
	;; [unrolled: 1-line block ×3, first 2 shown]
	v_fma_f16 v18, v35, 2.0, -v17
	v_fma_f16 v20, v33, 2.0, -v19
	v_sub_f16_e32 v13, v24, v13
	v_fma_f16 v16, v21, 2.0, -v7
	v_sub_f16_e32 v31, v22, v15
	v_fma_f16 v23, v24, 2.0, -v13
	v_fma_f16 v29, v22, 2.0, -v31
	s_waitcnt lgkmcnt(0)
	s_barrier
	ds_write_b16 v48, v18
	ds_write_b16 v48, v17 offset:22
	ds_write_b16 v47, v20
	ds_write_b16 v47, v19 offset:22
	;; [unrolled: 2-line block ×5, first 2 shown]
	s_waitcnt lgkmcnt(0)
	s_barrier
	ds_read_u16 v13, v9
	ds_read_u16 v16, v9 offset:440
	ds_read_u16 v18, v9 offset:880
	ds_read_u16 v20, v9 offset:1320
	ds_read_u16 v22, v9 offset:1760
	ds_read_u16 v24, v9 offset:2200
	ds_read_u16 v39, v9 offset:2640
                                        ; implicit-def: $vgpr33
                                        ; implicit-def: $vgpr38
                                        ; implicit-def: $vgpr35
	s_and_saveexec_b64 s[4:5], s[0:1]
	s_cbranch_execz .LBB0_19
; %bb.18:
	ds_read_u16 v7, v9 offset:308
	ds_read_u16 v29, v9 offset:748
	;; [unrolled: 1-line block ×7, first 2 shown]
.LBB0_19:
	s_or_b64 exec, exec, s[4:5]
	v_lshrrev_b16_e32 v15, 1, v3
	v_and_b32_e32 v15, 0x7f, v15
	v_mul_lo_u16_e32 v15, 0xbb, v15
	v_lshrrev_b16_e32 v44, 11, v15
	v_mul_lo_u16_e32 v15, 22, v44
	v_sub_u16_e32 v50, v3, v15
	v_mov_b32_e32 v15, 6
	v_mul_u32_u24_sdwa v15, v50, v15 dst_sel:DWORD dst_unused:UNUSED_PAD src0_sel:BYTE_0 src1_sel:DWORD
	v_lshlrev_b32_e32 v23, 2, v15
	global_load_dwordx4 v[46:49], v23, s[12:13] offset:44
	global_load_dwordx2 v[40:41], v23, s[12:13] offset:60
	s_mov_b32 s4, 0xba2f
	s_movk_i32 s6, 0x2b26
	s_mov_b32 s8, 0xbcab
	s_movk_i32 s9, 0x39e0
	;; [unrolled: 2-line block ×3, first 2 shown]
	s_movk_i32 s7, 0x3b00
	s_mov_b32 s17, 0xb574
	s_movk_i32 s16, 0x370e
	s_waitcnt vmcnt(1)
	v_mul_f16_sdwa v17, v45, v46 dst_sel:DWORD dst_unused:UNUSED_PAD src0_sel:DWORD src1_sel:WORD_1
	v_mul_f16_sdwa v19, v43, v47 dst_sel:DWORD dst_unused:UNUSED_PAD src0_sel:DWORD src1_sel:WORD_1
	v_mul_f16_sdwa v21, v42, v48 dst_sel:DWORD dst_unused:UNUSED_PAD src0_sel:DWORD src1_sel:WORD_1
	s_waitcnt lgkmcnt(5)
	v_mul_f16_sdwa v15, v16, v46 dst_sel:DWORD dst_unused:UNUSED_PAD src0_sel:DWORD src1_sel:WORD_1
	v_fma_f16 v17, v16, v46, v17
	s_waitcnt lgkmcnt(4)
	v_mul_f16_sdwa v16, v18, v47 dst_sel:DWORD dst_unused:UNUSED_PAD src0_sel:DWORD src1_sel:WORD_1
	v_fma_f16 v19, v18, v47, v19
	;; [unrolled: 3-line block ×3, first 2 shown]
	s_waitcnt lgkmcnt(2)
	v_mul_f16_sdwa v21, v22, v49 dst_sel:DWORD dst_unused:UNUSED_PAD src0_sel:DWORD src1_sel:WORD_1
	v_fma_f16 v21, v27, v49, -v21
	v_mul_f16_sdwa v27, v27, v49 dst_sel:DWORD dst_unused:UNUSED_PAD src0_sel:DWORD src1_sel:WORD_1
	v_fma_f16 v22, v22, v49, v27
	v_mul_u32_u24_sdwa v27, v12, s4 dst_sel:DWORD dst_unused:UNUSED_PAD src0_sel:WORD_0 src1_sel:DWORD
	v_lshrrev_b32_e32 v27, 20, v27
	s_waitcnt vmcnt(0) lgkmcnt(1)
	v_mul_f16_sdwa v23, v24, v40 dst_sel:DWORD dst_unused:UNUSED_PAD src0_sel:DWORD src1_sel:WORD_1
	v_mul_lo_u16_e32 v27, 22, v27
	v_fma_f16 v16, v43, v47, -v16
	v_fma_f16 v23, v25, v40, -v23
	v_mul_f16_sdwa v25, v25, v40 dst_sel:DWORD dst_unused:UNUSED_PAD src0_sel:DWORD src1_sel:WORD_1
	v_sub_u16_e32 v43, v12, v27
	v_fma_f16 v24, v24, v40, v25
	s_waitcnt lgkmcnt(0)
	v_mul_f16_sdwa v25, v39, v41 dst_sel:DWORD dst_unused:UNUSED_PAD src0_sel:DWORD src1_sel:WORD_1
	v_mul_u32_u24_e32 v27, 6, v43
	v_fma_f16 v15, v45, v46, -v15
	v_fma_f16 v25, v26, v41, -v25
	v_mul_f16_sdwa v26, v26, v41 dst_sel:DWORD dst_unused:UNUSED_PAD src0_sel:DWORD src1_sel:WORD_1
	v_lshlrev_b32_e32 v45, 2, v27
	v_fma_f16 v18, v42, v48, -v18
	v_fma_f16 v26, v39, v41, v26
	global_load_dwordx4 v[39:42], v45, s[12:13] offset:44
	s_waitcnt vmcnt(0)
	v_mul_f16_sdwa v27, v29, v39 dst_sel:DWORD dst_unused:UNUSED_PAD src0_sel:DWORD src1_sel:WORD_1
	v_fma_f16 v27, v28, v39, -v27
	v_mul_f16_sdwa v28, v28, v39 dst_sel:DWORD dst_unused:UNUSED_PAD src0_sel:DWORD src1_sel:WORD_1
	v_fma_f16 v29, v29, v39, v28
	v_mul_f16_sdwa v28, v31, v40 dst_sel:DWORD dst_unused:UNUSED_PAD src0_sel:DWORD src1_sel:WORD_1
	v_fma_f16 v28, v30, v40, -v28
	v_mul_f16_sdwa v30, v30, v40 dst_sel:DWORD dst_unused:UNUSED_PAD src0_sel:DWORD src1_sel:WORD_1
	v_fma_f16 v31, v31, v40, v30
	global_load_dwordx2 v[39:40], v45, s[12:13] offset:60
	v_mul_f16_sdwa v30, v14, v41 dst_sel:DWORD dst_unused:UNUSED_PAD src0_sel:DWORD src1_sel:WORD_1
	v_fma_f16 v30, v4, v41, -v30
	v_mul_f16_sdwa v4, v4, v41 dst_sel:DWORD dst_unused:UNUSED_PAD src0_sel:DWORD src1_sel:WORD_1
	v_fma_f16 v4, v14, v41, v4
	v_mul_f16_sdwa v14, v33, v42 dst_sel:DWORD dst_unused:UNUSED_PAD src0_sel:DWORD src1_sel:WORD_1
	v_fma_f16 v14, v32, v42, -v14
	v_mul_f16_sdwa v32, v32, v42 dst_sel:DWORD dst_unused:UNUSED_PAD src0_sel:DWORD src1_sel:WORD_1
	v_fma_f16 v32, v33, v42, v32
	v_sub_f16_e32 v41, v19, v24
	v_add_f16_e32 v42, v18, v21
	v_sub_f16_e32 v45, v22, v20
	v_add_f16_e32 v48, v45, v41
	v_sub_f16_e32 v49, v45, v41
	s_waitcnt vmcnt(0)
	s_barrier
	v_mul_f16_sdwa v33, v35, v39 dst_sel:DWORD dst_unused:UNUSED_PAD src0_sel:DWORD src1_sel:WORD_1
	v_fma_f16 v33, v34, v39, -v33
	v_mul_f16_sdwa v34, v34, v39 dst_sel:DWORD dst_unused:UNUSED_PAD src0_sel:DWORD src1_sel:WORD_1
	v_fma_f16 v34, v35, v39, v34
	v_mul_f16_sdwa v35, v38, v40 dst_sel:DWORD dst_unused:UNUSED_PAD src0_sel:DWORD src1_sel:WORD_1
	v_fma_f16 v35, v36, v40, -v35
	v_mul_f16_sdwa v36, v36, v40 dst_sel:DWORD dst_unused:UNUSED_PAD src0_sel:DWORD src1_sel:WORD_1
	v_fma_f16 v36, v38, v40, v36
	v_add_f16_e32 v38, v15, v25
	v_add_f16_e32 v40, v16, v23
	;; [unrolled: 1-line block ×3, first 2 shown]
	v_sub_f16_e32 v39, v17, v26
	v_sub_f16_e32 v47, v40, v38
	;; [unrolled: 1-line block ×4, first 2 shown]
	v_add_f16_e32 v42, v42, v46
	v_sub_f16_e32 v45, v39, v45
	v_sub_f16_e32 v41, v41, v39
	v_add_f16_e32 v39, v48, v39
	v_add_f16_e32 v37, v37, v42
	v_mul_f16_e32 v38, 0x3a52, v38
	v_mul_f16_e32 v46, 0x2b26, v40
	;; [unrolled: 1-line block ×4, first 2 shown]
	v_fma_f16 v42, v42, s8, v37
	v_fma_f16 v40, v40, s6, v38
	v_fma_f16 v46, v47, s9, -v46
	v_fma_f16 v38, v47, s14, -v38
	v_fma_f16 v47, v45, s15, v48
	v_fma_f16 v41, v41, s7, -v48
	v_fma_f16 v45, v45, s17, -v49
	v_add_f16_e32 v40, v40, v42
	v_add_f16_e32 v46, v46, v42
	;; [unrolled: 1-line block ×3, first 2 shown]
	v_fma_f16 v42, v39, s16, v47
	v_fma_f16 v41, v39, s16, v41
	;; [unrolled: 1-line block ×3, first 2 shown]
	v_add_f16_e32 v45, v42, v40
	v_sub_f16_e32 v40, v40, v42
	v_mov_b32_e32 v42, 1
	v_add_f16_e32 v47, v39, v38
	v_sub_f16_e32 v38, v38, v39
	v_mul_u32_u24_e32 v39, 0x134, v44
	v_lshlrev_b32_sdwa v42, v42, v50 dst_sel:DWORD dst_unused:UNUSED_PAD src0_sel:DWORD src1_sel:BYTE_0
	v_add3_u32 v39, 0, v39, v42
	v_sub_f16_e32 v48, v46, v41
	v_add_f16_e32 v41, v41, v46
	ds_write_b16 v39, v37
	ds_write_b16 v39, v45 offset:44
	ds_write_b16 v39, v47 offset:88
	ds_write_b16 v39, v48 offset:132
	ds_write_b16 v39, v41 offset:176
	ds_write_b16 v39, v38 offset:220
	ds_write_b16 v39, v40 offset:264
	v_lshrrev_b16_e32 v38, 1, v12
	v_lshlrev_b32_e32 v37, 1, v43
	s_and_saveexec_b64 s[4:5], s[0:1]
	s_cbranch_execz .LBB0_21
; %bb.20:
	v_add_f16_e32 v40, v27, v35
	v_add_f16_e32 v43, v28, v33
	;; [unrolled: 1-line block ×4, first 2 shown]
	v_sub_f16_e32 v47, v32, v4
	v_sub_f16_e32 v49, v31, v34
	;; [unrolled: 1-line block ×4, first 2 shown]
	v_add_f16_e32 v41, v41, v46
	v_sub_f16_e32 v46, v29, v36
	v_sub_f16_e32 v50, v47, v49
	v_mul_f16_e32 v42, 0x3a52, v42
	v_mul_f16_e32 v45, 0x2b26, v44
	v_add_f16_e32 v8, v8, v41
	v_sub_f16_e32 v48, v46, v47
	v_mul_f16_e32 v50, 0xb846, v50
	v_add_f16_e32 v47, v47, v49
	v_sub_f16_e32 v40, v43, v40
	v_sub_f16_e32 v43, v49, v46
	v_fma_f16 v44, v44, s6, v42
	v_fma_f16 v41, v41, s8, v8
	;; [unrolled: 1-line block ×3, first 2 shown]
	v_add_f16_e32 v47, v47, v46
	v_fma_f16 v42, v40, s14, -v42
	v_mul_f16_e32 v46, 0x3b00, v43
	v_fma_f16 v43, v43, s7, -v50
	v_fma_f16 v40, v40, s9, -v45
	v_add_f16_e32 v44, v44, v41
	v_fma_f16 v51, v47, s16, v51
	v_fma_f16 v43, v47, s16, v43
	v_add_f16_e32 v40, v40, v41
	v_sub_f16_e32 v52, v44, v51
	v_add_f16_e32 v42, v42, v41
	v_add_f16_e32 v41, v43, v40
	v_sub_f16_e32 v40, v40, v43
	v_add_f16_e32 v43, v51, v44
	v_and_b32_e32 v44, 0x7f, v38
	v_mul_lo_u16_e32 v44, 0xbb, v44
	v_lshrrev_b16_e32 v44, 11, v44
	v_fma_f16 v46, v48, s17, -v46
	v_mul_u32_u24_e32 v44, 0x134, v44
	v_fma_f16 v46, v47, s16, v46
	v_add3_u32 v44, 0, v44, v37
	v_sub_f16_e32 v48, v42, v46
	v_add_f16_e32 v42, v46, v42
	ds_write_b16 v44, v8
	ds_write_b16 v44, v43 offset:44
	ds_write_b16 v44, v42 offset:88
	;; [unrolled: 1-line block ×6, first 2 shown]
.LBB0_21:
	s_or_b64 exec, exec, s[4:5]
	v_add_f16_e32 v8, v17, v26
	v_add_f16_e32 v17, v19, v24
	v_sub_f16_e32 v15, v15, v25
	v_sub_f16_e32 v16, v16, v23
	v_add_f16_e32 v19, v20, v22
	v_sub_f16_e32 v18, v21, v18
	v_add_f16_e32 v20, v17, v8
	v_sub_f16_e32 v21, v17, v8
	v_sub_f16_e32 v8, v8, v19
	;; [unrolled: 1-line block ×3, first 2 shown]
	v_add_f16_e32 v22, v18, v16
	v_sub_f16_e32 v23, v18, v16
	v_sub_f16_e32 v16, v16, v15
	v_add_f16_e32 v19, v19, v20
	v_sub_f16_e32 v18, v15, v18
	v_add_f16_e32 v15, v22, v15
	v_add_f16_e32 v24, v13, v19
	v_mul_f16_e32 v8, 0x3a52, v8
	v_mul_f16_e32 v13, 0x2b26, v17
	;; [unrolled: 1-line block ×4, first 2 shown]
	v_fma_f16 v19, v19, s8, v24
	v_fma_f16 v17, v17, s6, v8
	v_fma_f16 v13, v21, s9, -v13
	v_fma_f16 v8, v21, s14, -v8
	v_fma_f16 v21, v18, s15, v20
	v_fma_f16 v16, v16, s7, -v20
	v_fma_f16 v18, v18, s17, -v22
	v_add_f16_e32 v17, v17, v19
	v_add_f16_e32 v13, v13, v19
	;; [unrolled: 1-line block ×3, first 2 shown]
	v_fma_f16 v19, v15, s16, v21
	v_fma_f16 v16, v15, s16, v16
	;; [unrolled: 1-line block ×3, first 2 shown]
	v_sub_f16_e32 v25, v17, v19
	v_sub_f16_e32 v26, v8, v15
	v_add_f16_e32 v40, v16, v13
	v_sub_f16_e32 v41, v13, v16
	v_add_f16_e32 v8, v15, v8
	v_add_f16_e32 v42, v19, v17
	s_waitcnt lgkmcnt(0)
	s_barrier
	ds_read_u16 v15, v9
	ds_read_u16 v16, v9 offset:2156
	ds_read_u16 v20, v9 offset:1848
	;; [unrolled: 1-line block ×9, first 2 shown]
	s_waitcnt lgkmcnt(0)
	s_barrier
	ds_write_b16 v39, v24
	ds_write_b16 v39, v25 offset:44
	ds_write_b16 v39, v26 offset:88
	ds_write_b16 v39, v40 offset:132
	ds_write_b16 v39, v41 offset:176
	ds_write_b16 v39, v8 offset:220
	ds_write_b16 v39, v42 offset:264
	s_and_saveexec_b64 s[4:5], s[0:1]
	s_cbranch_execz .LBB0_23
; %bb.22:
	v_add_f16_e32 v8, v29, v36
	v_add_f16_e32 v25, v31, v34
	v_add_f16_e32 v4, v4, v32
	v_sub_f16_e32 v24, v27, v35
	v_sub_f16_e32 v26, v28, v33
	v_add_f16_e32 v27, v25, v8
	v_sub_f16_e32 v28, v25, v8
	v_sub_f16_e32 v8, v8, v4
	;; [unrolled: 1-line block ×3, first 2 shown]
	v_mul_f16_e32 v8, 0x3a52, v8
	s_movk_i32 s0, 0x2b26
	v_sub_f16_e32 v14, v14, v30
	v_add_f16_e32 v4, v4, v27
	v_mul_f16_e32 v27, 0x2b26, v25
	v_fma_f16 v25, v25, s0, v8
	s_movk_i32 s0, 0x39e0
	v_add_f16_e32 v29, v14, v26
	v_sub_f16_e32 v30, v14, v26
	v_fma_f16 v27, v28, s0, -v27
	s_mov_b32 s0, 0xb9e0
	v_sub_f16_e32 v14, v24, v14
	v_sub_f16_e32 v26, v26, v24
	v_add_f16_e32 v24, v29, v24
	v_mul_f16_e32 v29, 0xb846, v30
	v_fma_f16 v8, v28, s0, -v8
	s_movk_i32 s0, 0x3574
	v_add_f16_e32 v7, v7, v4
	v_mul_f16_e32 v30, 0x3b00, v26
	s_mov_b32 s6, 0xbcab
	v_fma_f16 v28, v14, s0, v29
	s_mov_b32 s0, 0xb574
	v_fma_f16 v4, v4, s6, v7
	v_fma_f16 v14, v14, s0, -v30
	s_movk_i32 s0, 0x370e
	v_add_f16_e32 v25, v25, v4
	v_add_f16_e32 v27, v27, v4
	;; [unrolled: 1-line block ×3, first 2 shown]
	v_fma_f16 v14, v24, s0, v14
	v_fma_f16 v8, v24, s0, v28
	v_sub_f16_e32 v28, v4, v14
	v_add_f16_e32 v4, v14, v4
	v_and_b32_e32 v14, 0x7f, v38
	v_mul_lo_u16_e32 v14, 0xbb, v14
	s_movk_i32 s1, 0x3b00
	v_lshrrev_b16_e32 v14, 11, v14
	v_fma_f16 v26, v26, s1, -v29
	v_mul_u32_u24_e32 v14, 0x134, v14
	v_fma_f16 v26, v24, s0, v26
	v_add3_u32 v14, 0, v14, v37
	v_sub_f16_e32 v24, v25, v8
	v_add_f16_e32 v29, v26, v27
	v_sub_f16_e32 v26, v27, v26
	v_add_f16_e32 v8, v8, v25
	ds_write_b16 v14, v7
	ds_write_b16 v14, v24 offset:44
	ds_write_b16 v14, v28 offset:88
	;; [unrolled: 1-line block ×6, first 2 shown]
.LBB0_23:
	s_or_b64 exec, exec, s[4:5]
	v_lshlrev_b32_e32 v7, 2, v3
	v_mov_b32_e32 v8, 0
	v_lshlrev_b64 v[24:25], 2, v[7:8]
	v_mov_b32_e32 v4, s13
	v_add_co_u32_e64 v24, s[0:1], s12, v24
	v_addc_co_u32_e64 v25, s[0:1], v4, v25, s[0:1]
	s_waitcnt lgkmcnt(0)
	s_barrier
	global_load_dwordx4 v[24:27], v[24:25], off offset:572
	ds_read_u16 v4, v9
	ds_read_u16 v7, v9 offset:2156
	ds_read_u16 v14, v9 offset:1848
	;; [unrolled: 1-line block ×9, first 2 shown]
	s_movk_i32 s0, 0x3b9c
	s_mov_b32 s5, 0xbb9c
	s_movk_i32 s1, 0x38b4
	s_mov_b32 s6, 0xb8b4
	s_movk_i32 s4, 0x34f2
	s_waitcnt vmcnt(0) lgkmcnt(0)
	s_barrier
	v_mul_f16_sdwa v37, v29, v25 dst_sel:DWORD dst_unused:UNUSED_PAD src0_sel:DWORD src1_sel:WORD_1
	v_mul_f16_sdwa v39, v14, v26 dst_sel:DWORD dst_unused:UNUSED_PAD src0_sel:DWORD src1_sel:WORD_1
	;; [unrolled: 1-line block ×10, first 2 shown]
	v_fma_f16 v21, v21, v25, -v37
	v_fma_f16 v20, v20, v26, -v39
	v_mul_f16_sdwa v43, v30, v24 dst_sel:DWORD dst_unused:UNUSED_PAD src0_sel:DWORD src1_sel:WORD_1
	v_mul_f16_sdwa v44, v19, v24 dst_sel:DWORD dst_unused:UNUSED_PAD src0_sel:DWORD src1_sel:WORD_1
	v_fma_f16 v23, v23, v24, -v35
	v_fma_f16 v31, v31, v24, v36
	v_fma_f16 v29, v29, v25, v38
	v_fma_f16 v22, v22, v27, -v41
	v_fma_f16 v33, v33, v27, v42
	v_fma_f16 v17, v17, v25, -v45
	v_fma_f16 v25, v28, v25, v46
	v_add_f16_e32 v28, v21, v20
	v_mul_f16_sdwa v47, v7, v26 dst_sel:DWORD dst_unused:UNUSED_PAD src0_sel:DWORD src1_sel:WORD_1
	v_mul_f16_sdwa v48, v16, v26 dst_sel:DWORD dst_unused:UNUSED_PAD src0_sel:DWORD src1_sel:WORD_1
	;; [unrolled: 1-line block ×4, first 2 shown]
	v_fma_f16 v14, v14, v26, v40
	v_fma_f16 v19, v19, v24, -v43
	v_fma_f16 v24, v30, v24, v44
	v_sub_f16_e32 v30, v31, v33
	v_sub_f16_e32 v35, v23, v21
	;; [unrolled: 1-line block ×3, first 2 shown]
	v_add_f16_e32 v37, v23, v22
	v_sub_f16_e32 v38, v21, v23
	v_sub_f16_e32 v39, v20, v22
	v_add_f16_e32 v40, v4, v31
	v_fma_f16 v28, v28, -0.5, v15
	v_fma_f16 v16, v16, v26, -v47
	v_fma_f16 v7, v7, v26, v48
	v_fma_f16 v18, v18, v27, -v49
	v_fma_f16 v26, v34, v27, v50
	v_add_f16_e32 v27, v15, v23
	v_sub_f16_e32 v34, v29, v14
	v_add_f16_e32 v35, v35, v36
	v_fma_f16 v15, v37, -0.5, v15
	v_add_f16_e32 v36, v38, v39
	v_add_f16_e32 v37, v40, v29
	v_fma_f16 v38, v30, s0, v28
	v_fma_f16 v28, v30, s5, v28
	v_add_f16_e32 v27, v27, v21
	v_fma_f16 v39, v34, s5, v15
	v_fma_f16 v15, v34, s0, v15
	;; [unrolled: 3-line block ×5, first 2 shown]
	v_add_f16_e32 v35, v29, v14
	v_add_f16_e32 v27, v27, v22
	v_fma_f16 v35, v35, -0.5, v4
	v_sub_f16_e32 v22, v23, v22
	v_fma_f16 v23, v22, s5, v35
	v_sub_f16_e32 v20, v21, v20
	v_fma_f16 v34, v36, s4, v34
	v_fma_f16 v15, v36, s4, v15
	;; [unrolled: 1-line block ×3, first 2 shown]
	v_sub_f16_e32 v23, v31, v29
	v_sub_f16_e32 v36, v33, v14
	v_add_f16_e32 v23, v23, v36
	v_fma_f16 v36, v23, s4, v21
	v_fma_f16 v21, v22, s0, v35
	;; [unrolled: 1-line block ×4, first 2 shown]
	v_add_f16_e32 v21, v31, v33
	v_fma_f16 v4, v21, -0.5, v4
	v_fma_f16 v21, v20, s0, v4
	v_sub_f16_e32 v29, v29, v31
	v_sub_f16_e32 v14, v14, v33
	v_fma_f16 v21, v22, s6, v21
	v_add_f16_e32 v14, v29, v14
	v_fma_f16 v4, v20, s5, v4
	v_add_f16_e32 v20, v17, v16
	v_fma_f16 v29, v14, s4, v21
	v_fma_f16 v20, v20, -0.5, v13
	v_sub_f16_e32 v21, v24, v26
	v_fma_f16 v4, v22, s1, v4
	v_fma_f16 v22, v21, s0, v20
	v_sub_f16_e32 v31, v25, v7
	v_sub_f16_e32 v33, v19, v17
	;; [unrolled: 1-line block ×3, first 2 shown]
	v_fma_f16 v20, v21, s5, v20
	v_fma_f16 v22, v31, s1, v22
	v_add_f16_e32 v33, v33, v35
	v_fma_f16 v20, v31, s6, v20
	v_fma_f16 v22, v33, s4, v22
	;; [unrolled: 1-line block ×3, first 2 shown]
	v_add_f16_e32 v33, v19, v18
	v_fma_f16 v4, v14, s4, v4
	v_add_f16_e32 v14, v13, v19
	v_fma_f16 v13, v33, -0.5, v13
	v_fma_f16 v33, v31, s5, v13
	v_fma_f16 v13, v31, s0, v13
	;; [unrolled: 1-line block ×4, first 2 shown]
	v_add_f16_e32 v21, v32, v24
	v_add_f16_e32 v21, v21, v25
	;; [unrolled: 1-line block ×8, first 2 shown]
	v_sub_f16_e32 v35, v17, v19
	v_sub_f16_e32 v38, v16, v18
	v_fma_f16 v21, v21, -0.5, v32
	v_sub_f16_e32 v18, v19, v18
	v_add_f16_e32 v35, v35, v38
	v_fma_f16 v19, v18, s5, v21
	v_sub_f16_e32 v16, v17, v16
	v_fma_f16 v33, v35, s4, v33
	v_fma_f16 v13, v35, s4, v13
	;; [unrolled: 1-line block ×3, first 2 shown]
	v_sub_f16_e32 v19, v24, v25
	v_sub_f16_e32 v35, v26, v7
	v_add_f16_e32 v19, v19, v35
	v_fma_f16 v35, v19, s4, v17
	v_fma_f16 v17, v18, s0, v21
	;; [unrolled: 1-line block ×4, first 2 shown]
	v_add_f16_e32 v17, v24, v26
	v_fma_f16 v17, v17, -0.5, v32
	v_fma_f16 v19, v16, s0, v17
	v_sub_f16_e32 v21, v25, v24
	v_sub_f16_e32 v7, v7, v26
	v_fma_f16 v16, v16, s5, v17
	v_fma_f16 v19, v18, s6, v19
	v_add_f16_e32 v7, v21, v7
	v_fma_f16 v16, v18, s1, v16
	v_fma_f16 v24, v7, s4, v19
	v_fma_f16 v25, v7, s4, v16
	ds_write_b16 v9, v27
	ds_write_b16 v9, v37 offset:308
	ds_write_b16 v9, v34 offset:616
	;; [unrolled: 1-line block ×9, first 2 shown]
	s_waitcnt lgkmcnt(0)
	s_barrier
	ds_read_u16 v17, v9 offset:1848
	ds_read_u16 v18, v9 offset:2156
	ds_read_u16 v7, v9
	ds_read_u16 v13, v9 offset:308
	ds_read_u16 v14, v9 offset:616
	;; [unrolled: 1-line block ×7, first 2 shown]
	s_waitcnt lgkmcnt(0)
	s_barrier
	ds_write_b16 v9, v30
	ds_write_b16 v9, v36 offset:308
	ds_write_b16 v9, v29 offset:616
	ds_write_b16 v9, v4 offset:924
	ds_write_b16 v9, v23 offset:1232
	ds_write_b16 v9, v31 offset:1540
	ds_write_b16 v9, v35 offset:1848
	ds_write_b16 v9, v24 offset:2156
	ds_write_b16 v9, v25 offset:2464
	ds_write_b16 v9, v38 offset:2772
	s_waitcnt lgkmcnt(0)
	s_barrier
	s_and_saveexec_b64 s[0:1], vcc
	s_cbranch_execz .LBB0_25
; %bb.24:
	v_mov_b32_e32 v4, v8
	v_lshlrev_b64 v[22:23], 2, v[3:4]
	v_mov_b32_e32 v4, s13
	v_add_co_u32_e32 v22, vcc, s12, v22
	v_addc_co_u32_e32 v23, vcc, v4, v23, vcc
	v_add_co_u32_e32 v24, vcc, 0x1000, v22
	v_addc_co_u32_e32 v25, vcc, 0, v23, vcc
	global_load_dword v26, v[24:25], off offset:1404
	global_load_dword v27, v[24:25], off offset:788
	;; [unrolled: 1-line block ×5, first 2 shown]
	v_mul_lo_u32 v22, s3, v5
	v_mul_lo_u32 v6, s2, v6
	v_mad_u64_u32 v[4:5], s[0:1], s2, v5, 0
	ds_read_u16 v24, v9 offset:2772
	ds_read_u16 v25, v9 offset:2464
	;; [unrolled: 1-line block ×9, first 2 shown]
	ds_read_u16 v38, v9
	v_mad_u64_u32 v[8:9], s[0:1], s20, v3, 0
	v_add3_u32 v5, v5, v6, v22
	v_lshlrev_b64 v[4:5], 2, v[4:5]
	v_mov_b32_e32 v6, v9
	v_mad_u64_u32 v[22:23], s[0:1], s21, v3, v[6:7]
	v_mov_b32_e32 v39, s11
	v_lshlrev_b64 v[1:2], 2, v[1:2]
	v_add_co_u32_e32 v4, vcc, s10, v4
	v_addc_co_u32_e32 v5, vcc, v39, v5, vcc
	v_add_co_u32_e32 v23, vcc, v4, v1
	v_addc_co_u32_e32 v39, vcc, v5, v2, vcc
	v_mov_b32_e32 v9, v22
	v_lshlrev_b64 v[1:2], 2, v[8:9]
	s_mov_b32 s3, 0x551c979b
	v_add_co_u32_e32 v1, vcc, v23, v1
	v_addc_co_u32_e32 v2, vcc, v39, v2, vcc
	s_movk_i32 s2, 0x302
	s_waitcnt vmcnt(4) lgkmcnt(9)
	v_mul_f16_sdwa v4, v24, v26 dst_sel:DWORD dst_unused:UNUSED_PAD src0_sel:DWORD src1_sel:WORD_1
	v_mul_f16_sdwa v5, v21, v26 dst_sel:DWORD dst_unused:UNUSED_PAD src0_sel:DWORD src1_sel:WORD_1
	s_waitcnt vmcnt(2) lgkmcnt(7)
	v_mul_f16_sdwa v9, v31, v28 dst_sel:DWORD dst_unused:UNUSED_PAD src0_sel:DWORD src1_sel:WORD_1
	v_mul_f16_sdwa v22, v18, v28 dst_sel:DWORD dst_unused:UNUSED_PAD src0_sel:DWORD src1_sel:WORD_1
	;; [unrolled: 3-line block ×3, first 2 shown]
	v_fma_f16 v4, v21, v26, -v4
	v_fma_f16 v5, v26, v24, v5
	v_fma_f16 v19, v19, v30, -v42
	v_fma_f16 v21, v30, v33, v43
	v_add_u32_e32 v30, 0x302, v3
	v_mul_f16_sdwa v6, v25, v27 dst_sel:DWORD dst_unused:UNUSED_PAD src0_sel:DWORD src1_sel:WORD_1
	v_fma_f16 v9, v18, v28, -v9
	v_fma_f16 v18, v28, v31, v22
	v_sub_f16_e32 v22, v16, v4
	s_waitcnt lgkmcnt(4)
	v_sub_f16_e32 v24, v34, v5
	v_mad_u64_u32 v[4:5], s[0:1], s20, v30, 0
	v_mul_f16_sdwa v8, v20, v27 dst_sel:DWORD dst_unused:UNUSED_PAD src0_sel:DWORD src1_sel:WORD_1
	v_fma_f16 v6, v20, v27, -v6
	v_sub_f16_e32 v19, v7, v19
	s_waitcnt lgkmcnt(0)
	v_sub_f16_e32 v21, v38, v21
	v_fma_f16 v8, v27, v25, v8
	v_sub_f16_e32 v25, v15, v6
	v_fma_f16 v6, v7, 2.0, -v19
	v_fma_f16 v7, v38, 2.0, -v21
	v_pack_b32_f16 v6, v6, v7
	global_store_dword v[1:2], v6, off
	v_mov_b32_e32 v1, v5
	v_mad_u64_u32 v[1:2], s[0:1], s21, v30, v[1:2]
	v_mad_u64_u32 v[6:7], s[0:1], s20, v12, 0
	v_mov_b32_e32 v5, v1
	v_lshlrev_b64 v[1:2], 2, v[4:5]
	v_mov_b32_e32 v4, v7
	v_mad_u64_u32 v[4:5], s[0:1], s21, v12, v[4:5]
	v_add_co_u32_e32 v1, vcc, v23, v1
	v_addc_co_u32_e32 v2, vcc, v39, v2, vcc
	v_pack_b32_f16 v5, v19, v21
	global_store_dword v[1:2], v5, off
	v_add_u32_e32 v5, 0x39c, v3
	v_mov_b32_e32 v7, v4
	v_mad_u64_u32 v[3:4], s[0:1], s20, v5, 0
	v_lshlrev_b64 v[1:2], 2, v[6:7]
	v_mul_hi_u32 v6, v11, s3
	v_mad_u64_u32 v[4:5], s[0:1], s21, v5, v[4:5]
	v_mul_f16_sdwa v40, v32, v29 dst_sel:DWORD dst_unused:UNUSED_PAD src0_sel:DWORD src1_sel:WORD_1
	v_lshrrev_b32_e32 v5, 8, v6
	v_mul_f16_sdwa v41, v17, v29 dst_sel:DWORD dst_unused:UNUSED_PAD src0_sel:DWORD src1_sel:WORD_1
	v_mad_u32_u24 v11, v5, s2, v11
	v_fma_f16 v17, v17, v29, -v40
	v_fma_f16 v20, v29, v32, v41
	v_mad_u64_u32 v[5:6], s[0:1], s20, v11, 0
	v_sub_f16_e32 v17, v13, v17
	v_sub_f16_e32 v20, v37, v20
	v_fma_f16 v13, v13, 2.0, -v17
	v_fma_f16 v29, v37, 2.0, -v20
	v_add_co_u32_e32 v1, vcc, v23, v1
	v_addc_co_u32_e32 v2, vcc, v39, v2, vcc
	v_pack_b32_f16 v7, v13, v29
	global_store_dword v[1:2], v7, off
	v_lshlrev_b64 v[1:2], 2, v[3:4]
	v_mov_b32_e32 v3, v6
	v_mad_u64_u32 v[3:4], s[0:1], s21, v11, v[3:4]
	v_add_co_u32_e32 v1, vcc, v23, v1
	v_addc_co_u32_e32 v2, vcc, v39, v2, vcc
	v_pack_b32_f16 v4, v17, v20
	v_mov_b32_e32 v6, v3
	global_store_dword v[1:2], v4, off
	v_lshlrev_b64 v[1:2], 2, v[5:6]
	v_add_u32_e32 v5, 0x302, v11
	v_mad_u64_u32 v[3:4], s[0:1], s20, v5, 0
	v_mul_hi_u32 v6, v10, s3
	v_sub_f16_e32 v9, v14, v9
	v_mad_u64_u32 v[4:5], s[0:1], s21, v5, v[4:5]
	v_lshrrev_b32_e32 v5, 8, v6
	v_mad_u32_u24 v10, v5, s2, v10
	v_mad_u64_u32 v[5:6], s[0:1], s20, v10, 0
	v_sub_f16_e32 v18, v36, v18
	v_fma_f16 v14, v14, 2.0, -v9
	v_fma_f16 v28, v36, 2.0, -v18
	v_add_co_u32_e32 v1, vcc, v23, v1
	v_addc_co_u32_e32 v2, vcc, v39, v2, vcc
	v_pack_b32_f16 v7, v14, v28
	global_store_dword v[1:2], v7, off
	v_lshlrev_b64 v[1:2], 2, v[3:4]
	v_mov_b32_e32 v3, v6
	v_mad_u64_u32 v[3:4], s[0:1], s21, v10, v[3:4]
	v_add_co_u32_e32 v1, vcc, v23, v1
	v_addc_co_u32_e32 v2, vcc, v39, v2, vcc
	v_pack_b32_f16 v4, v9, v18
	v_mov_b32_e32 v6, v3
	global_store_dword v[1:2], v4, off
	v_lshlrev_b64 v[1:2], 2, v[5:6]
	v_add_u32_e32 v5, 0x302, v10
	v_mad_u64_u32 v[3:4], s[0:1], s20, v5, 0
	v_mul_hi_u32 v6, v0, s3
	v_sub_f16_e32 v8, v35, v8
	v_mad_u64_u32 v[4:5], s[0:1], s21, v5, v[4:5]
	v_fma_f16 v15, v15, 2.0, -v25
	v_fma_f16 v27, v35, 2.0, -v8
	v_add_co_u32_e32 v1, vcc, v23, v1
	v_addc_co_u32_e32 v2, vcc, v39, v2, vcc
	v_pack_b32_f16 v5, v15, v27
	global_store_dword v[1:2], v5, off
	v_lshlrev_b64 v[1:2], 2, v[3:4]
	v_lshrrev_b32_e32 v3, 8, v6
	v_mad_u32_u24 v6, v3, s2, v0
	v_mad_u64_u32 v[3:4], s[0:1], s20, v6, 0
	v_add_co_u32_e32 v0, vcc, v23, v1
	v_addc_co_u32_e32 v1, vcc, v39, v2, vcc
	v_mov_b32_e32 v2, v4
	v_pack_b32_f16 v7, v25, v8
	v_mad_u64_u32 v[4:5], s[0:1], s21, v6, v[2:3]
	v_add_u32_e32 v8, 0x302, v6
	v_mad_u64_u32 v[5:6], s[0:1], s20, v8, 0
	global_store_dword v[0:1], v7, off
	v_lshlrev_b64 v[0:1], 2, v[3:4]
	v_mov_b32_e32 v2, v6
	v_mad_u64_u32 v[2:3], s[0:1], s21, v8, v[2:3]
	v_fma_f16 v16, v16, 2.0, -v22
	v_fma_f16 v26, v34, 2.0, -v24
	v_add_co_u32_e32 v0, vcc, v23, v0
	v_addc_co_u32_e32 v1, vcc, v39, v1, vcc
	v_pack_b32_f16 v3, v16, v26
	v_mov_b32_e32 v6, v2
	global_store_dword v[0:1], v3, off
	v_lshlrev_b64 v[0:1], 2, v[5:6]
	v_pack_b32_f16 v2, v22, v24
	v_add_co_u32_e32 v0, vcc, v23, v0
	v_addc_co_u32_e32 v1, vcc, v39, v1, vcc
	global_store_dword v[0:1], v2, off
.LBB0_25:
	s_endpgm
	.section	.rodata,"a",@progbits
	.p2align	6, 0x0
	.amdhsa_kernel fft_rtc_fwd_len1540_factors_11_2_7_5_2_wgs_154_tpt_154_halfLds_half_op_CI_CI_sbrr_dirReg
		.amdhsa_group_segment_fixed_size 0
		.amdhsa_private_segment_fixed_size 0
		.amdhsa_kernarg_size 104
		.amdhsa_user_sgpr_count 6
		.amdhsa_user_sgpr_private_segment_buffer 1
		.amdhsa_user_sgpr_dispatch_ptr 0
		.amdhsa_user_sgpr_queue_ptr 0
		.amdhsa_user_sgpr_kernarg_segment_ptr 1
		.amdhsa_user_sgpr_dispatch_id 0
		.amdhsa_user_sgpr_flat_scratch_init 0
		.amdhsa_user_sgpr_private_segment_size 0
		.amdhsa_uses_dynamic_stack 0
		.amdhsa_system_sgpr_private_segment_wavefront_offset 0
		.amdhsa_system_sgpr_workgroup_id_x 1
		.amdhsa_system_sgpr_workgroup_id_y 0
		.amdhsa_system_sgpr_workgroup_id_z 0
		.amdhsa_system_sgpr_workgroup_info 0
		.amdhsa_system_vgpr_workitem_id 0
		.amdhsa_next_free_vgpr 59
		.amdhsa_next_free_sgpr 32
		.amdhsa_reserve_vcc 1
		.amdhsa_reserve_flat_scratch 0
		.amdhsa_float_round_mode_32 0
		.amdhsa_float_round_mode_16_64 0
		.amdhsa_float_denorm_mode_32 3
		.amdhsa_float_denorm_mode_16_64 3
		.amdhsa_dx10_clamp 1
		.amdhsa_ieee_mode 1
		.amdhsa_fp16_overflow 0
		.amdhsa_exception_fp_ieee_invalid_op 0
		.amdhsa_exception_fp_denorm_src 0
		.amdhsa_exception_fp_ieee_div_zero 0
		.amdhsa_exception_fp_ieee_overflow 0
		.amdhsa_exception_fp_ieee_underflow 0
		.amdhsa_exception_fp_ieee_inexact 0
		.amdhsa_exception_int_div_zero 0
	.end_amdhsa_kernel
	.text
.Lfunc_end0:
	.size	fft_rtc_fwd_len1540_factors_11_2_7_5_2_wgs_154_tpt_154_halfLds_half_op_CI_CI_sbrr_dirReg, .Lfunc_end0-fft_rtc_fwd_len1540_factors_11_2_7_5_2_wgs_154_tpt_154_halfLds_half_op_CI_CI_sbrr_dirReg
                                        ; -- End function
	.section	.AMDGPU.csdata,"",@progbits
; Kernel info:
; codeLenInByte = 9988
; NumSgprs: 36
; NumVgprs: 59
; ScratchSize: 0
; MemoryBound: 0
; FloatMode: 240
; IeeeMode: 1
; LDSByteSize: 0 bytes/workgroup (compile time only)
; SGPRBlocks: 4
; VGPRBlocks: 14
; NumSGPRsForWavesPerEU: 36
; NumVGPRsForWavesPerEU: 59
; Occupancy: 4
; WaveLimiterHint : 1
; COMPUTE_PGM_RSRC2:SCRATCH_EN: 0
; COMPUTE_PGM_RSRC2:USER_SGPR: 6
; COMPUTE_PGM_RSRC2:TRAP_HANDLER: 0
; COMPUTE_PGM_RSRC2:TGID_X_EN: 1
; COMPUTE_PGM_RSRC2:TGID_Y_EN: 0
; COMPUTE_PGM_RSRC2:TGID_Z_EN: 0
; COMPUTE_PGM_RSRC2:TIDIG_COMP_CNT: 0
	.type	__hip_cuid_6147af011491c11b,@object ; @__hip_cuid_6147af011491c11b
	.section	.bss,"aw",@nobits
	.globl	__hip_cuid_6147af011491c11b
__hip_cuid_6147af011491c11b:
	.byte	0                               ; 0x0
	.size	__hip_cuid_6147af011491c11b, 1

	.ident	"AMD clang version 19.0.0git (https://github.com/RadeonOpenCompute/llvm-project roc-6.4.0 25133 c7fe45cf4b819c5991fe208aaa96edf142730f1d)"
	.section	".note.GNU-stack","",@progbits
	.addrsig
	.addrsig_sym __hip_cuid_6147af011491c11b
	.amdgpu_metadata
---
amdhsa.kernels:
  - .args:
      - .actual_access:  read_only
        .address_space:  global
        .offset:         0
        .size:           8
        .value_kind:     global_buffer
      - .offset:         8
        .size:           8
        .value_kind:     by_value
      - .actual_access:  read_only
        .address_space:  global
        .offset:         16
        .size:           8
        .value_kind:     global_buffer
      - .actual_access:  read_only
        .address_space:  global
        .offset:         24
        .size:           8
        .value_kind:     global_buffer
      - .actual_access:  read_only
        .address_space:  global
        .offset:         32
        .size:           8
        .value_kind:     global_buffer
      - .offset:         40
        .size:           8
        .value_kind:     by_value
      - .actual_access:  read_only
        .address_space:  global
        .offset:         48
        .size:           8
        .value_kind:     global_buffer
      - .actual_access:  read_only
        .address_space:  global
        .offset:         56
        .size:           8
        .value_kind:     global_buffer
      - .offset:         64
        .size:           4
        .value_kind:     by_value
      - .actual_access:  read_only
        .address_space:  global
        .offset:         72
        .size:           8
        .value_kind:     global_buffer
      - .actual_access:  read_only
        .address_space:  global
        .offset:         80
        .size:           8
        .value_kind:     global_buffer
      - .actual_access:  read_only
        .address_space:  global
        .offset:         88
        .size:           8
        .value_kind:     global_buffer
      - .actual_access:  write_only
        .address_space:  global
        .offset:         96
        .size:           8
        .value_kind:     global_buffer
    .group_segment_fixed_size: 0
    .kernarg_segment_align: 8
    .kernarg_segment_size: 104
    .language:       OpenCL C
    .language_version:
      - 2
      - 0
    .max_flat_workgroup_size: 154
    .name:           fft_rtc_fwd_len1540_factors_11_2_7_5_2_wgs_154_tpt_154_halfLds_half_op_CI_CI_sbrr_dirReg
    .private_segment_fixed_size: 0
    .sgpr_count:     36
    .sgpr_spill_count: 0
    .symbol:         fft_rtc_fwd_len1540_factors_11_2_7_5_2_wgs_154_tpt_154_halfLds_half_op_CI_CI_sbrr_dirReg.kd
    .uniform_work_group_size: 1
    .uses_dynamic_stack: false
    .vgpr_count:     59
    .vgpr_spill_count: 0
    .wavefront_size: 64
amdhsa.target:   amdgcn-amd-amdhsa--gfx906
amdhsa.version:
  - 1
  - 2
...

	.end_amdgpu_metadata
